;; amdgpu-corpus repo=ROCm/rocFFT kind=compiled arch=gfx1030 opt=O3
	.text
	.amdgcn_target "amdgcn-amd-amdhsa--gfx1030"
	.amdhsa_code_object_version 6
	.protected	fft_rtc_back_len125_factors_5_5_5_wgs_400_tpt_25_dp_op_CI_CI_sbcc_twdbase6_3step ; -- Begin function fft_rtc_back_len125_factors_5_5_5_wgs_400_tpt_25_dp_op_CI_CI_sbcc_twdbase6_3step
	.globl	fft_rtc_back_len125_factors_5_5_5_wgs_400_tpt_25_dp_op_CI_CI_sbcc_twdbase6_3step
	.p2align	8
	.type	fft_rtc_back_len125_factors_5_5_5_wgs_400_tpt_25_dp_op_CI_CI_sbcc_twdbase6_3step,@function
fft_rtc_back_len125_factors_5_5_5_wgs_400_tpt_25_dp_op_CI_CI_sbcc_twdbase6_3step: ; @fft_rtc_back_len125_factors_5_5_5_wgs_400_tpt_25_dp_op_CI_CI_sbcc_twdbase6_3step
; %bb.0:
	s_clause 0x1
	s_load_dwordx8 s[8:15], s[4:5], 0x8
	s_load_dwordx2 s[26:27], s[4:5], 0x28
	s_mov_b32 s0, exec_lo
	v_cmpx_gt_u32_e32 0xc0, v0
	s_cbranch_execz .LBB0_2
; %bb.1:
	v_lshlrev_b32_e32 v5, 4, v0
	s_waitcnt lgkmcnt(0)
	global_load_dwordx4 v[1:4], v5, s[8:9]
	v_add3_u32 v5, 0, v5, 0x7d00
	s_waitcnt vmcnt(0)
	ds_write2_b64 v5, v[1:2], v[3:4] offset1:1
.LBB0_2:
	s_or_b32 exec_lo, exec_lo, s0
	s_waitcnt lgkmcnt(0)
	s_load_dwordx2 s[28:29], s[12:13], 0x8
	s_mov_b32 s7, 0
	s_mov_b64 s[8:9], 0
	s_waitcnt lgkmcnt(0)
	s_add_u32 s0, s28, -1
	s_addc_u32 s1, s29, -1
	s_lshr_b64 s[0:1], s[0:1], 4
	s_add_u32 s30, s0, 1
	s_addc_u32 s31, s1, 0
	v_cmp_lt_u64_e64 s0, s[6:7], s[30:31]
	s_and_b32 vcc_lo, exec_lo, s0
	s_cbranch_vccnz .LBB0_4
; %bb.3:
	v_cvt_f32_u32_e32 v1, s30
	s_sub_i32 s1, 0, s30
	s_mov_b32 s9, s7
	v_rcp_iflag_f32_e32 v1, v1
	v_mul_f32_e32 v1, 0x4f7ffffe, v1
	v_cvt_u32_f32_e32 v1, v1
	v_readfirstlane_b32 s0, v1
	s_mul_i32 s1, s1, s0
	s_mul_hi_u32 s1, s0, s1
	s_add_i32 s0, s0, s1
	s_mul_hi_u32 s0, s6, s0
	s_mul_i32 s1, s0, s30
	s_add_i32 s2, s0, 1
	s_sub_i32 s1, s6, s1
	s_sub_i32 s3, s1, s30
	s_cmp_ge_u32 s1, s30
	s_cselect_b32 s0, s2, s0
	s_cselect_b32 s1, s3, s1
	s_add_i32 s2, s0, 1
	s_cmp_ge_u32 s1, s30
	s_cselect_b32 s8, s2, s0
.LBB0_4:
	s_load_dwordx4 s[20:23], s[14:15], 0x0
	s_load_dwordx4 s[0:3], s[26:27], 0x0
	s_mul_i32 s16, s8, s31
	s_mul_hi_u32 s17, s8, s30
	s_mul_i32 s18, s8, s30
	s_add_i32 s17, s17, s16
	s_sub_u32 s34, s6, s18
	s_subb_u32 s35, 0, s17
	s_clause 0x1
	s_load_dwordx4 s[16:19], s[4:5], 0x60
	s_load_dwordx2 s[24:25], s[4:5], 0x0
	v_alignbit_b32 v1, s35, s34, 28
	s_lshl_b64 s[4:5], s[34:35], 4
	v_cmp_lt_u64_e64 s33, s[10:11], 3
	s_and_b32 vcc_lo, exec_lo, s33
	s_waitcnt lgkmcnt(0)
	v_mul_lo_u32 v2, s22, v1
	v_mul_lo_u32 v1, s2, v1
	s_mul_hi_u32 s34, s22, s4
	s_mul_hi_u32 s37, s2, s4
	s_mul_i32 s35, s23, s4
	s_mul_i32 s36, s22, s4
	;; [unrolled: 1-line block ×3, first 2 shown]
	v_add_nc_u32_e32 v3, s34, v2
	v_add_nc_u32_e32 v1, s37, v1
	s_mul_i32 s34, s2, s4
	v_mov_b32_e32 v2, s36
	v_mov_b32_e32 v8, s34
	v_add_nc_u32_e32 v3, s35, v3
	v_add_nc_u32_e32 v9, s38, v1
	s_cbranch_vccnz .LBB0_13
; %bb.5:
	s_add_u32 s34, s26, 16
	s_addc_u32 s35, s27, 0
	s_add_u32 s36, s14, 16
	s_addc_u32 s37, s15, 0
	;; [unrolled: 2-line block ×3, first 2 shown]
	s_mov_b64 s[38:39], 2
	s_mov_b32 s40, 0
	s_branch .LBB0_7
.LBB0_6:                                ;   in Loop: Header=BB0_7 Depth=1
	s_load_dwordx2 s[46:47], s[36:37], 0x0
	s_load_dwordx2 s[48:49], s[34:35], 0x0
	s_mul_i32 s31, s42, s31
	s_mul_hi_u32 s33, s42, s30
	s_mul_i32 s41, s43, s30
	s_mul_i32 s43, s44, s43
	s_mul_hi_u32 s50, s44, s42
	s_mul_i32 s51, s45, s42
	s_add_i32 s31, s33, s31
	s_add_i32 s33, s50, s43
	s_mul_i32 s52, s44, s42
	s_add_i32 s31, s31, s41
	s_add_i32 s33, s33, s51
	s_sub_u32 s8, s8, s52
	s_subb_u32 s9, s9, s33
	s_mul_i32 s30, s42, s30
	s_waitcnt lgkmcnt(0)
	s_mul_i32 s33, s46, s9
	s_mul_hi_u32 s41, s46, s8
	s_mul_i32 s43, s46, s8
	s_mul_i32 s9, s48, s9
	s_mul_hi_u32 s46, s48, s8
	s_mul_i32 s42, s47, s8
	s_add_i32 s33, s41, s33
	s_add_i32 s9, s46, s9
	s_mul_i32 s41, s49, s8
	s_add_i32 s33, s33, s42
	s_add_i32 s9, s9, s41
	v_add_co_u32 v2, vcc_lo, s43, v2
	s_add_u32 s38, s38, 1
	s_mul_i32 s8, s48, s8
	s_addc_u32 s39, s39, 0
	v_add_co_ci_u32_e32 v3, vcc_lo, s33, v3, vcc_lo
	v_add_co_u32 v8, vcc_lo, s8, v8
	v_cmp_ge_u64_e64 s8, s[38:39], s[10:11]
	s_add_u32 s34, s34, 8
	s_addc_u32 s35, s35, 0
	v_add_co_ci_u32_e32 v9, vcc_lo, s9, v9, vcc_lo
	s_add_u32 s36, s36, 8
	s_addc_u32 s37, s37, 0
	s_add_u32 s12, s12, 8
	s_addc_u32 s13, s13, 0
	s_and_b32 vcc_lo, exec_lo, s8
	s_mov_b64 s[8:9], s[44:45]
	s_cbranch_vccnz .LBB0_11
.LBB0_7:                                ; =>This Inner Loop Header: Depth=1
	s_load_dwordx2 s[42:43], s[12:13], 0x0
	s_mov_b32 s33, -1
	s_waitcnt lgkmcnt(0)
	s_or_b64 s[44:45], s[8:9], s[42:43]
	s_mov_b32 s41, s45
                                        ; implicit-def: $sgpr44_sgpr45
	s_cmp_lg_u64 s[40:41], 0
	s_cbranch_scc0 .LBB0_9
; %bb.8:                                ;   in Loop: Header=BB0_7 Depth=1
	v_cvt_f32_u32_e32 v1, s42
	v_cvt_f32_u32_e32 v4, s43
	s_sub_u32 s44, 0, s42
	s_subb_u32 s45, 0, s43
	v_fmac_f32_e32 v1, 0x4f800000, v4
	v_rcp_f32_e32 v1, v1
	v_mul_f32_e32 v1, 0x5f7ffffc, v1
	v_mul_f32_e32 v4, 0x2f800000, v1
	v_trunc_f32_e32 v4, v4
	v_fmac_f32_e32 v1, 0xcf800000, v4
	v_cvt_u32_f32_e32 v4, v4
	v_cvt_u32_f32_e32 v1, v1
	v_readfirstlane_b32 s33, v4
	v_readfirstlane_b32 s41, v1
	s_mul_i32 s46, s44, s33
	s_mul_hi_u32 s48, s44, s41
	s_mul_i32 s47, s45, s41
	s_add_i32 s46, s48, s46
	s_mul_i32 s49, s44, s41
	s_add_i32 s46, s46, s47
	s_mul_hi_u32 s48, s41, s49
	s_mul_hi_u32 s50, s33, s49
	s_mul_i32 s47, s33, s49
	s_mul_hi_u32 s49, s41, s46
	s_mul_i32 s41, s41, s46
	s_mul_hi_u32 s51, s33, s46
	s_add_u32 s41, s48, s41
	s_addc_u32 s48, 0, s49
	s_add_u32 s41, s41, s47
	s_mul_i32 s46, s33, s46
	s_addc_u32 s41, s48, s50
	s_addc_u32 s47, s51, 0
	s_add_u32 s41, s41, s46
	s_addc_u32 s46, 0, s47
	v_add_co_u32 v1, s41, v1, s41
	s_cmp_lg_u32 s41, 0
	s_addc_u32 s33, s33, s46
	v_readfirstlane_b32 s41, v1
	s_mul_i32 s46, s44, s33
	s_mul_hi_u32 s47, s44, s41
	s_mul_i32 s45, s45, s41
	s_add_i32 s46, s47, s46
	s_mul_i32 s44, s44, s41
	s_add_i32 s46, s46, s45
	s_mul_hi_u32 s47, s33, s44
	s_mul_i32 s48, s33, s44
	s_mul_hi_u32 s44, s41, s44
	s_mul_hi_u32 s49, s41, s46
	s_mul_i32 s41, s41, s46
	s_mul_hi_u32 s45, s33, s46
	s_add_u32 s41, s44, s41
	s_addc_u32 s44, 0, s49
	s_add_u32 s41, s41, s48
	s_mul_i32 s46, s33, s46
	s_addc_u32 s41, s44, s47
	s_addc_u32 s44, s45, 0
	s_add_u32 s41, s41, s46
	s_addc_u32 s44, 0, s44
	v_add_co_u32 v1, s41, v1, s41
	s_cmp_lg_u32 s41, 0
	s_addc_u32 s33, s33, s44
	v_readfirstlane_b32 s41, v1
	s_mul_i32 s45, s8, s33
	s_mul_hi_u32 s44, s8, s33
	s_mul_hi_u32 s46, s9, s33
	s_mul_i32 s33, s9, s33
	s_mul_hi_u32 s47, s8, s41
	s_mul_hi_u32 s48, s9, s41
	s_mul_i32 s41, s9, s41
	s_add_u32 s45, s47, s45
	s_addc_u32 s44, 0, s44
	s_add_u32 s41, s45, s41
	s_addc_u32 s41, s44, s48
	s_addc_u32 s44, s46, 0
	s_add_u32 s41, s41, s33
	s_addc_u32 s44, 0, s44
	s_mul_hi_u32 s33, s42, s41
	s_mul_i32 s46, s42, s44
	s_mul_i32 s47, s42, s41
	s_add_i32 s33, s33, s46
	v_sub_co_u32 v1, s46, s8, s47
	s_mul_i32 s45, s43, s41
	s_add_i32 s33, s33, s45
	v_sub_co_u32 v4, s47, v1, s42
	s_sub_i32 s45, s9, s33
	s_cmp_lg_u32 s46, 0
	s_subb_u32 s45, s45, s43
	s_cmp_lg_u32 s47, 0
	v_readfirstlane_b32 s47, v4
	s_subb_u32 s45, s45, 0
	s_cmp_ge_u32 s45, s43
	s_cselect_b32 s48, -1, 0
	s_cmp_ge_u32 s47, s42
	s_cselect_b32 s47, -1, 0
	s_cmp_eq_u32 s45, s43
	s_cselect_b32 s45, s47, s48
	s_add_u32 s47, s41, 1
	s_addc_u32 s48, s44, 0
	s_add_u32 s49, s41, 2
	s_addc_u32 s50, s44, 0
	s_cmp_lg_u32 s45, 0
	s_cselect_b32 s47, s49, s47
	s_cselect_b32 s45, s50, s48
	s_cmp_lg_u32 s46, 0
	v_readfirstlane_b32 s46, v1
	s_subb_u32 s33, s9, s33
	s_cmp_ge_u32 s33, s43
	s_cselect_b32 s48, -1, 0
	s_cmp_ge_u32 s46, s42
	s_cselect_b32 s46, -1, 0
	s_cmp_eq_u32 s33, s43
	s_cselect_b32 s33, s46, s48
	s_cmp_lg_u32 s33, 0
	s_mov_b32 s33, 0
	s_cselect_b32 s45, s45, s44
	s_cselect_b32 s44, s47, s41
.LBB0_9:                                ;   in Loop: Header=BB0_7 Depth=1
	s_andn2_b32 vcc_lo, exec_lo, s33
	s_cbranch_vccnz .LBB0_6
; %bb.10:                               ;   in Loop: Header=BB0_7 Depth=1
	v_cvt_f32_u32_e32 v1, s42
	s_sub_i32 s41, 0, s42
	v_rcp_iflag_f32_e32 v1, v1
	v_mul_f32_e32 v1, 0x4f7ffffe, v1
	v_cvt_u32_f32_e32 v1, v1
	v_readfirstlane_b32 s33, v1
	s_mul_i32 s41, s41, s33
	s_mul_hi_u32 s41, s33, s41
	s_add_i32 s33, s33, s41
	s_mul_hi_u32 s33, s8, s33
	s_mul_i32 s41, s33, s42
	s_add_i32 s44, s33, 1
	s_sub_i32 s41, s8, s41
	s_sub_i32 s45, s41, s42
	s_cmp_ge_u32 s41, s42
	s_cselect_b32 s33, s44, s33
	s_cselect_b32 s41, s45, s41
	s_add_i32 s44, s33, 1
	s_cmp_ge_u32 s41, s42
	s_mov_b32 s45, s40
	s_cselect_b32 s44, s44, s33
	s_branch .LBB0_6
.LBB0_11:
	v_cmp_lt_u64_e64 s7, s[6:7], s[30:31]
	s_mov_b64 s[8:9], 0
	s_and_b32 vcc_lo, exec_lo, s7
	s_cbranch_vccnz .LBB0_13
; %bb.12:
	v_cvt_f32_u32_e32 v1, s30
	s_sub_i32 s8, 0, s30
	v_rcp_iflag_f32_e32 v1, v1
	v_mul_f32_e32 v1, 0x4f7ffffe, v1
	v_cvt_u32_f32_e32 v1, v1
	v_readfirstlane_b32 s7, v1
	s_mul_i32 s8, s8, s7
	s_mul_hi_u32 s8, s7, s8
	s_add_i32 s7, s7, s8
	s_mul_hi_u32 s7, s6, s7
	s_mul_i32 s8, s7, s30
	s_sub_i32 s6, s6, s8
	s_add_i32 s8, s7, 1
	s_sub_i32 s9, s6, s30
	s_cmp_ge_u32 s6, s30
	s_cselect_b32 s7, s8, s7
	s_cselect_b32 s6, s9, s6
	s_add_i32 s8, s7, 1
	s_cmp_ge_u32 s6, s30
	s_cselect_b32 s8, s8, s7
.LBB0_13:
	v_and_b32_e32 v15, 15, v0
	s_lshl_b64 s[10:11], s[10:11], 3
	v_mov_b32_e32 v5, s5
	s_add_u32 s6, s26, s10
	s_addc_u32 s7, s27, s11
	v_or_b32_e32 v4, s4, v15
	s_add_u32 s12, s4, 16
	s_addc_u32 s13, s5, 0
	v_lshrrev_b32_e32 v14, 4, v0
	v_cmp_le_u64_e64 s5, s[12:13], s[28:29]
	v_cmp_gt_u64_e32 vcc_lo, s[28:29], v[4:5]
	v_mov_b32_e32 v1, 0
	v_mul_u32_u24_e32 v16, 0x7d0, v15
	v_lshlrev_b32_e32 v17, 4, v14
	v_add_nc_u32_e32 v13, 25, v14
	v_add_nc_u32_e32 v12, 50, v14
	;; [unrolled: 1-line block ×4, first 2 shown]
	s_or_b32 s5, s5, vcc_lo
	s_and_saveexec_b32 s9, s5
	s_cbranch_execz .LBB0_15
; %bb.14:
	s_add_u32 s10, s14, s10
	s_addc_u32 s11, s15, s11
	v_mad_u64_u32 v[4:5], null, s22, v15, 0
	s_load_dwordx2 s[10:11], s[10:11], 0x0
	v_mad_u64_u32 v[6:7], null, s20, v14, 0
	v_mad_u64_u32 v[18:19], null, s20, v13, 0
	v_lshlrev_b64 v[2:3], 4, v[2:3]
	v_mad_u64_u32 v[24:25], null, s20, v10, 0
	v_mad_u64_u32 v[20:21], null, s23, v15, v[5:6]
	;; [unrolled: 1-line block ×4, first 2 shown]
	v_mov_b32_e32 v5, v20
	v_mad_u64_u32 v[19:20], null, s21, v13, v[19:20]
	s_waitcnt lgkmcnt(0)
	s_mul_i32 s11, s11, s8
	s_mul_hi_u32 s12, s10, s8
	s_mul_i32 s10, s10, s8
	s_add_i32 s11, s12, s11
	v_lshlrev_b64 v[4:5], 4, v[4:5]
	s_lshl_b64 s[10:11], s[10:11], 4
	v_mov_b32_e32 v7, v21
	s_add_u32 s10, s16, s10
	s_addc_u32 s11, s17, s11
	v_add_co_u32 v26, vcc_lo, s10, v2
	v_mov_b32_e32 v2, v23
	v_mad_u64_u32 v[20:21], null, s20, v11, 0
	v_add_co_ci_u32_e32 v27, vcc_lo, s11, v3, vcc_lo
	v_mad_u64_u32 v[2:3], null, s21, v12, v[2:3]
	v_add_co_u32 v28, vcc_lo, v26, v4
	v_add_co_ci_u32_e32 v29, vcc_lo, v27, v5, vcc_lo
	v_lshlrev_b64 v[4:5], 4, v[6:7]
	v_mov_b32_e32 v3, v21
	v_mov_b32_e32 v23, v2
	v_lshlrev_b64 v[6:7], 4, v[18:19]
	v_mad_u64_u32 v[2:3], null, s21, v11, v[3:4]
	v_mov_b32_e32 v3, v25
	v_add_co_u32 v4, vcc_lo, v28, v4
	v_lshlrev_b64 v[22:23], 4, v[22:23]
	v_add_co_ci_u32_e32 v5, vcc_lo, v29, v5, vcc_lo
	v_mad_u64_u32 v[18:19], null, s21, v10, v[3:4]
	v_mov_b32_e32 v21, v2
	v_add_co_u32 v6, vcc_lo, v28, v6
	v_add_co_ci_u32_e32 v7, vcc_lo, v29, v7, vcc_lo
	v_lshlrev_b64 v[2:3], 4, v[20:21]
	v_mov_b32_e32 v25, v18
	v_add_co_u32 v22, vcc_lo, v28, v22
	v_add_co_ci_u32_e32 v23, vcc_lo, v29, v23, vcc_lo
	v_lshlrev_b64 v[18:19], 4, v[24:25]
	v_add_co_u32 v26, vcc_lo, v28, v2
	v_add_co_ci_u32_e32 v27, vcc_lo, v29, v3, vcc_lo
	v_add_co_u32 v30, vcc_lo, v28, v18
	v_add_co_ci_u32_e32 v31, vcc_lo, v29, v19, vcc_lo
	s_clause 0x4
	global_load_dwordx4 v[2:5], v[4:5], off
	global_load_dwordx4 v[18:21], v[6:7], off
	;; [unrolled: 1-line block ×5, first 2 shown]
	v_add3_u32 v6, 0, v16, v17
	s_waitcnt vmcnt(4)
	ds_write_b128 v6, v[2:5]
	s_waitcnt vmcnt(3)
	ds_write_b128 v6, v[18:21] offset:400
	s_waitcnt vmcnt(2)
	ds_write_b128 v6, v[22:25] offset:800
	;; [unrolled: 2-line block ×4, first 2 shown]
.LBB0_15:
	s_or_b32 exec_lo, exec_lo, s9
	v_mul_hi_u32 v20, 0xa3d70a4, v0
	s_load_dwordx2 s[6:7], s[6:7], 0x0
	s_waitcnt lgkmcnt(0)
	s_barrier
	buffer_gl0_inv
	s_mov_b32 s10, 0x134454ff
	s_mov_b32 s11, 0xbfee6f0e
	;; [unrolled: 1-line block ×3, first 2 shown]
	v_and_b32_e32 v2, 15, v20
	v_mul_u32_u24_e32 v3, 25, v20
	s_mov_b32 s12, s10
	s_mov_b32 s14, 0x4755a5e
	;; [unrolled: 1-line block ×3, first 2 shown]
	v_mul_u32_u24_e32 v2, 0x7d, v2
	v_sub_nc_u32_e32 v21, v0, v3
	s_mov_b32 s17, 0x3fe2cf23
	s_mov_b32 s16, s14
	;; [unrolled: 1-line block ×3, first 2 shown]
	v_lshlrev_b32_e32 v2, 4, v2
	v_lshlrev_b32_e32 v0, 4, v21
	s_mov_b32 s21, 0x3fd3c6ef
	v_add_nc_u32_e32 v20, s4, v20
	s_add_i32 s4, 0, 0x7d00
	v_add3_u32 v18, 0, v0, v2
	v_add3_u32 v19, 0, v2, v0
	v_and_b32_e32 v0, 0xff, v21
	v_mul_lo_u32 v74, v20, 25
	ds_read_b128 v[3:6], v18 offset:800
	ds_read_b128 v[22:25], v18 offset:1200
	ds_read_b128 v[26:29], v18 offset:1600
	ds_read_b128 v[30:33], v18 offset:400
	ds_read_b128 v[34:37], v19
	v_mul_lo_u16 v0, 0xcd, v0
	s_waitcnt lgkmcnt(0)
	s_barrier
	buffer_gl0_inv
	v_mul_lo_u32 v20, v20, v21
	v_lshrrev_b16 v0, 10, v0
	v_mul_lo_u16 v7, v0, 5
	v_sub_nc_u16 v7, v21, v7
	v_add_f64 v[38:39], v[3:4], v[22:23]
	v_add_f64 v[42:43], v[5:6], v[24:25]
	;; [unrolled: 1-line block ×6, first 2 shown]
	v_add_f64 v[48:49], v[32:33], -v[28:29]
	v_add_f64 v[54:55], v[30:31], -v[26:27]
	;; [unrolled: 1-line block ×9, first 2 shown]
	v_fma_f64 v[38:39], v[38:39], -0.5, v[34:35]
	v_fma_f64 v[42:43], v[42:43], -0.5, v[36:37]
	;; [unrolled: 1-line block ×3, first 2 shown]
	v_add_f64 v[40:41], v[3:4], -v[22:23]
	v_fma_f64 v[36:37], v[44:45], -0.5, v[36:37]
	v_add_f64 v[44:45], v[30:31], -v[3:4]
	v_add_f64 v[30:31], v[3:4], -v[30:31]
	v_add_f64 v[3:4], v[46:47], v[3:4]
	v_add_f64 v[5:6], v[50:51], v[5:6]
	v_fma_f64 v[46:47], v[48:49], s[10:11], v[38:39]
	v_fma_f64 v[38:39], v[48:49], s[12:13], v[38:39]
	v_fma_f64 v[66:67], v[54:55], s[12:13], v[42:43]
	v_fma_f64 v[50:51], v[52:53], s[12:13], v[34:35]
	v_fma_f64 v[34:35], v[52:53], s[10:11], v[34:35]
	v_fma_f64 v[68:69], v[40:41], s[10:11], v[36:37]
	v_fma_f64 v[36:37], v[40:41], s[12:13], v[36:37]
	v_fma_f64 v[42:43], v[54:55], s[10:11], v[42:43]
	v_add_f64 v[3:4], v[3:4], v[22:23]
	v_add_f64 v[5:6], v[5:6], v[24:25]
	;; [unrolled: 1-line block ×6, first 2 shown]
	v_fma_f64 v[22:23], v[52:53], s[14:15], v[46:47]
	v_fma_f64 v[24:25], v[52:53], s[16:17], v[38:39]
	v_fma_f64 v[38:39], v[40:41], s[16:17], v[66:67]
	v_fma_f64 v[30:31], v[48:49], s[14:15], v[50:51]
	v_fma_f64 v[32:33], v[48:49], s[16:17], v[34:35]
	v_fma_f64 v[46:47], v[54:55], s[16:17], v[68:69]
	v_fma_f64 v[36:37], v[54:55], s[14:15], v[36:37]
	v_fma_f64 v[40:41], v[40:41], s[14:15], v[42:43]
	v_add_f64 v[3:4], v[3:4], v[26:27]
	v_add_f64 v[5:6], v[5:6], v[28:29]
	v_fma_f64 v[22:23], v[44:45], s[20:21], v[22:23]
	v_fma_f64 v[26:27], v[44:45], s[20:21], v[24:25]
	;; [unrolled: 1-line block ×8, first 2 shown]
	v_mov_b32_e32 v38, 6
	v_lshl_add_u32 v39, v21, 6, v18
	ds_write_b128 v39, v[3:6]
	ds_write_b128 v39, v[22:25] offset:16
	ds_write_b128 v39, v[30:33] offset:32
	;; [unrolled: 1-line block ×4, first 2 shown]
	v_lshlrev_b32_sdwa v38, v38, v7 dst_sel:DWORD dst_unused:UNUSED_PAD src0_sel:DWORD src1_sel:BYTE_0
	s_waitcnt lgkmcnt(0)
	s_barrier
	buffer_gl0_inv
	s_clause 0x3
	global_load_dwordx4 v[3:6], v38, s[24:25]
	global_load_dwordx4 v[22:25], v38, s[24:25] offset:16
	global_load_dwordx4 v[26:29], v38, s[24:25] offset:32
	;; [unrolled: 1-line block ×3, first 2 shown]
	ds_read_b128 v[34:37], v18 offset:400
	ds_read_b128 v[38:41], v18 offset:800
	;; [unrolled: 1-line block ×4, first 2 shown]
	ds_read_b128 v[50:53], v19
	s_waitcnt vmcnt(0) lgkmcnt(0)
	s_barrier
	buffer_gl0_inv
	v_mul_f64 v[54:55], v[36:37], v[5:6]
	v_mul_f64 v[56:57], v[40:41], v[24:25]
	;; [unrolled: 1-line block ×8, first 2 shown]
	v_fma_f64 v[34:35], v[34:35], v[3:4], v[54:55]
	v_fma_f64 v[38:39], v[38:39], v[22:23], v[56:57]
	;; [unrolled: 1-line block ×3, first 2 shown]
	v_fma_f64 v[22:23], v[40:41], v[22:23], -v[24:25]
	v_fma_f64 v[24:25], v[44:45], v[26:27], -v[28:29]
	;; [unrolled: 1-line block ×3, first 2 shown]
	v_fma_f64 v[5:6], v[46:47], v[30:31], v[60:61]
	v_fma_f64 v[26:27], v[48:49], v[30:31], -v[32:33]
	v_add_f64 v[40:41], v[50:51], v[34:35]
	v_add_f64 v[28:29], v[38:39], v[42:43]
	v_add_f64 v[32:33], v[22:23], v[24:25]
	v_add_f64 v[44:45], v[52:53], v[3:4]
	v_add_f64 v[30:31], v[34:35], v[5:6]
	v_add_f64 v[36:37], v[3:4], v[26:27]
	v_add_f64 v[46:47], v[3:4], -v[26:27]
	v_add_f64 v[54:55], v[34:35], -v[5:6]
	;; [unrolled: 1-line block ×9, first 2 shown]
	v_fma_f64 v[28:29], v[28:29], -0.5, v[50:51]
	v_fma_f64 v[32:33], v[32:33], -0.5, v[52:53]
	v_add_f64 v[22:23], v[44:45], v[22:23]
	v_fma_f64 v[30:31], v[30:31], -0.5, v[50:51]
	v_add_f64 v[50:51], v[38:39], -v[42:43]
	v_fma_f64 v[36:37], v[36:37], -0.5, v[52:53]
	v_add_f64 v[52:53], v[34:35], -v[38:39]
	v_add_f64 v[34:35], v[38:39], -v[34:35]
	v_add_f64 v[38:39], v[40:41], v[38:39]
	v_fma_f64 v[40:41], v[46:47], s[10:11], v[28:29]
	v_fma_f64 v[28:29], v[46:47], s[12:13], v[28:29]
	;; [unrolled: 1-line block ×8, first 2 shown]
	v_add_f64 v[34:35], v[34:35], v[58:59]
	v_add_f64 v[58:59], v[3:4], v[64:65]
	;; [unrolled: 1-line block ×6, first 2 shown]
	v_fma_f64 v[24:25], v[48:49], s[14:15], v[40:41]
	v_fma_f64 v[28:29], v[48:49], s[16:17], v[28:29]
	;; [unrolled: 1-line block ×3, first 2 shown]
	v_and_b32_e32 v49, 0xffff, v0
	v_fma_f64 v[38:39], v[46:47], s[14:15], v[44:45]
	v_fma_f64 v[40:41], v[46:47], s[16:17], v[30:31]
	;; [unrolled: 1-line block ×5, first 2 shown]
	v_lshlrev_b32_e32 v0, 2, v21
	v_add_f64 v[3:4], v[3:4], v[5:6]
	v_add_f64 v[5:6], v[22:23], v[26:27]
	v_mov_b32_e32 v48, 4
	v_add_nc_u32_e32 v21, v20, v74
	v_lshlrev_b64 v[0:1], 4, v[0:1]
	v_lshlrev_b32_sdwa v7, v48, v7 dst_sel:DWORD dst_unused:UNUSED_PAD src0_sel:DWORD src1_sel:BYTE_0
	v_add_nc_u32_e32 v82, v21, v74
	v_fma_f64 v[22:23], v[52:53], s[20:21], v[24:25]
	v_fma_f64 v[26:27], v[52:53], s[20:21], v[28:29]
	;; [unrolled: 1-line block ×3, first 2 shown]
	v_add_nc_u32_e32 v83, v82, v74
	v_fma_f64 v[30:31], v[34:35], s[20:21], v[38:39]
	v_fma_f64 v[34:35], v[34:35], s[20:21], v[40:41]
	;; [unrolled: 1-line block ×5, first 2 shown]
	v_mad_u32_u24 v38, 0x190, v49, 0
	v_add_nc_u32_e32 v90, v83, v74
	v_add3_u32 v2, v38, v7, v2
	v_add_co_u32 v38, vcc_lo, s24, v0
	v_add_co_ci_u32_e32 v39, vcc_lo, s25, v1, vcc_lo
	ds_write_b128 v2, v[3:6]
	ds_write_b128 v2, v[22:25] offset:80
	ds_write_b128 v2, v[30:33] offset:160
	ds_write_b128 v2, v[34:37] offset:240
	ds_write_b128 v2, v[26:29] offset:320
	s_waitcnt lgkmcnt(0)
	s_barrier
	buffer_gl0_inv
	s_clause 0x3
	global_load_dwordx4 v[4:7], v[38:39], off offset:320
	global_load_dwordx4 v[0:3], v[38:39], off offset:336
	global_load_dwordx4 v[22:25], v[38:39], off offset:352
	global_load_dwordx4 v[26:29], v[38:39], off offset:368
	v_lshrrev_b32_e32 v30, 2, v20
	v_lshrrev_b32_e32 v32, 2, v21
	;; [unrolled: 1-line block ×3, first 2 shown]
	v_and_b32_e32 v31, 63, v20
	v_and_b32_e32 v33, 63, v21
	;; [unrolled: 1-line block ×6, first 2 shown]
	v_lshl_add_u32 v31, v31, 4, 0
	v_lshl_add_u32 v38, v33, 4, 0
	;; [unrolled: 1-line block ×3, first 2 shown]
	v_add_nc_u32_e32 v35, s4, v30
	v_add_nc_u32_e32 v42, s4, v32
	;; [unrolled: 1-line block ×3, first 2 shown]
	ds_read_b128 v[30:33], v31 offset:32000
	ds_read_b128 v[34:37], v35 offset:1024
	;; [unrolled: 1-line block ×6, first 2 shown]
	v_lshrrev_b32_e32 v20, 8, v20
	v_lshrrev_b32_e32 v21, 8, v21
	v_and_b32_e32 v20, 0x3f0, v20
	v_and_b32_e32 v21, 0x3f0, v21
	v_add_nc_u32_e32 v54, s4, v20
	v_add_nc_u32_e32 v58, s4, v21
	ds_read_b128 v[54:57], v54 offset:2048
	ds_read_b128 v[58:61], v58 offset:2048
	;; [unrolled: 1-line block ×4, first 2 shown]
	s_waitcnt lgkmcnt(8)
	v_mul_f64 v[20:21], v[32:33], v[36:37]
	v_mul_f64 v[36:37], v[30:31], v[36:37]
	s_waitcnt lgkmcnt(4)
	v_mul_f64 v[72:73], v[48:49], v[52:53]
	v_mul_f64 v[52:53], v[46:47], v[52:53]
	;; [unrolled: 1-line block ×4, first 2 shown]
	v_fma_f64 v[74:75], v[30:31], v[34:35], -v[20:21]
	v_fma_f64 v[76:77], v[32:33], v[34:35], v[36:37]
	ds_read_b128 v[30:33], v18 offset:1200
	ds_read_b128 v[34:37], v19
	v_fma_f64 v[72:73], v[46:47], v[50:51], -v[72:73]
	v_fma_f64 v[80:81], v[48:49], v[50:51], v[52:53]
	v_fma_f64 v[70:71], v[38:39], v[42:43], -v[70:71]
	v_fma_f64 v[78:79], v[40:41], v[42:43], v[44:45]
	ds_read_b128 v[38:41], v18 offset:1600
	v_and_b32_e32 v21, 63, v83
	v_and_b32_e32 v42, 63, v90
	v_lshl_add_u32 v21, v21, 4, 0
	v_lshl_add_u32 v50, v42, 4, 0
	ds_read_b128 v[42:45], v21 offset:32000
	v_lshrrev_b32_e32 v21, 8, v82
	v_and_b32_e32 v21, 0x3f0, v21
	v_add_nc_u32_e32 v21, s4, v21
	s_waitcnt vmcnt(3) lgkmcnt(5)
	v_mul_f64 v[19:20], v[64:65], v[6:7]
	v_mul_f64 v[6:7], v[62:63], v[6:7]
	s_waitcnt vmcnt(2) lgkmcnt(4)
	v_mul_f64 v[46:47], v[68:69], v[2:3]
	v_mul_f64 v[48:49], v[66:67], v[2:3]
	v_lshrrev_b32_e32 v2, 2, v83
	v_lshrrev_b32_e32 v3, 2, v90
	v_and_b32_e32 v2, 0x3f0, v2
	v_and_b32_e32 v3, 0x3f0, v3
	v_add_nc_u32_e32 v2, s4, v2
	v_add_nc_u32_e32 v51, s4, v3
	v_fma_f64 v[62:63], v[62:63], v[4:5], v[19:20]
	v_fma_f64 v[6:7], v[64:65], v[4:5], -v[6:7]
	ds_read_b128 v[2:5], v2 offset:1024
	s_waitcnt vmcnt(1) lgkmcnt(4)
	v_mul_f64 v[19:20], v[32:33], v[24:25]
	v_mul_f64 v[24:25], v[30:31], v[24:25]
	s_waitcnt vmcnt(0) lgkmcnt(2)
	v_mul_f64 v[64:65], v[40:41], v[28:29]
	v_fma_f64 v[66:67], v[66:67], v[0:1], v[46:47]
	v_fma_f64 v[0:1], v[68:69], v[0:1], -v[48:49]
	v_mul_f64 v[68:69], v[38:39], v[28:29]
	ds_read_b128 v[46:49], v50 offset:32000
	ds_read_b128 v[50:53], v51 offset:1024
	v_lshrrev_b32_e32 v28, 8, v83
	v_and_b32_e32 v28, 0x3f0, v28
	v_add_nc_u32_e32 v28, s4, v28
	v_add_f64 v[84:85], v[34:35], v[62:63]
	v_fma_f64 v[82:83], v[30:31], v[22:23], v[19:20]
	v_fma_f64 v[23:24], v[32:33], v[22:23], -v[24:25]
	s_waitcnt lgkmcnt(2)
	v_mul_f64 v[32:33], v[44:45], v[4:5]
	v_fma_f64 v[38:39], v[38:39], v[26:27], v[64:65]
	v_mul_f64 v[4:5], v[42:43], v[4:5]
	v_fma_f64 v[25:26], v[40:41], v[26:27], -v[68:69]
	s_waitcnt lgkmcnt(0)
	v_mul_f64 v[40:41], v[48:49], v[52:53]
	v_mul_f64 v[52:53], v[46:47], v[52:53]
	v_add_f64 v[64:65], v[66:67], -v[62:63]
	ds_read_b128 v[19:22], v21 offset:2048
	ds_read_b128 v[28:31], v28 offset:2048
	v_add_f64 v[84:85], v[84:85], v[66:67]
	v_fma_f64 v[32:33], v[42:43], v[2:3], -v[32:33]
	v_add_f64 v[42:43], v[62:63], v[38:39]
	v_fma_f64 v[4:5], v[44:45], v[2:3], v[4:5]
	v_add_f64 v[2:3], v[66:67], v[82:83]
	v_fma_f64 v[40:41], v[46:47], v[50:51], -v[40:41]
	v_add_f64 v[44:45], v[0:1], v[23:24]
	v_add_f64 v[46:47], v[6:7], v[25:26]
	v_fma_f64 v[48:49], v[48:49], v[50:51], v[52:53]
	v_add_f64 v[50:51], v[62:63], -v[66:67]
	v_add_f64 v[52:53], v[38:39], -v[82:83]
	;; [unrolled: 1-line block ×5, first 2 shown]
	v_add_f64 v[82:83], v[84:85], v[82:83]
	v_fma_f64 v[2:3], v[2:3], -0.5, v[34:35]
	v_fma_f64 v[34:35], v[42:43], -0.5, v[34:35]
	;; [unrolled: 1-line block ×4, first 2 shown]
	v_add_f64 v[36:37], v[36:37], v[6:7]
	v_add_f64 v[46:47], v[0:1], -v[6:7]
	v_add_f64 v[50:51], v[50:51], v[52:53]
	v_add_f64 v[52:53], v[23:24], -v[25:26]
	;; [unrolled: 2-line block ×3, first 2 shown]
	v_add_f64 v[38:39], v[82:83], v[38:39]
	v_mul_f64 v[82:83], v[74:75], v[56:57]
	v_mul_f64 v[56:57], v[76:77], v[56:57]
	v_add_f64 v[46:47], v[46:47], v[52:53]
	v_add_f64 v[52:53], v[6:7], -v[0:1]
	v_add_f64 v[6:7], v[6:7], -v[25:26]
	v_add_f64 v[0:1], v[36:37], v[0:1]
	v_fma_f64 v[36:37], v[68:69], s[12:13], v[34:35]
	v_fma_f64 v[34:35], v[68:69], s[10:11], v[34:35]
	;; [unrolled: 1-line block ×15, first 2 shown]
	v_add_f64 v[62:63], v[0:1], v[23:24]
	v_add_f64 v[0:1], v[25:26], -v[23:24]
	v_lshrrev_b32_e32 v2, 8, v90
	s_waitcnt lgkmcnt(0)
	v_mul_f64 v[6:7], v[32:33], v[30:31]
	v_fma_f64 v[44:45], v[66:67], s[16:17], v[44:45]
	v_fma_f64 v[42:43], v[66:67], s[14:15], v[42:43]
	v_mul_f64 v[66:67], v[72:73], v[21:22]
	v_and_b32_e32 v2, 0x3f0, v2
	v_mul_f64 v[21:22], v[80:81], v[21:22]
	v_add_nc_u32_e32 v2, s4, v2
	v_fma_f64 v[34:35], v[46:47], s[20:21], v[34:35]
	v_add_f64 v[25:26], v[62:63], v[25:26]
	v_add_f64 v[23:24], v[52:53], v[0:1]
	ds_read_b128 v[0:3], v2 offset:2048
	v_fma_f64 v[52:53], v[68:69], s[14:15], v[84:85]
	v_mul_f64 v[62:63], v[70:71], v[60:61]
	v_fma_f64 v[84:85], v[46:47], s[20:21], v[88:89]
	v_fma_f64 v[68:69], v[68:69], s[16:17], v[86:87]
	v_fma_f64 v[6:7], v[28:29], v[4:5], v[6:7]
	v_mul_f64 v[4:5], v[4:5], v[30:31]
	v_mul_f64 v[60:61], v[78:79], v[60:61]
	v_fma_f64 v[66:67], v[19:20], v[80:81], v[66:67]
	v_fma_f64 v[21:22], v[19:20], v[72:73], -v[21:22]
	s_waitcnt lgkmcnt(0)
	s_barrier
	buffer_gl0_inv
	v_mul_f64 v[46:47], v[40:41], v[2:3]
	v_mul_f64 v[2:3], v[48:49], v[2:3]
	v_fma_f64 v[44:45], v[23:24], s[20:21], v[44:45]
	v_fma_f64 v[42:43], v[23:24], s[20:21], v[42:43]
	;; [unrolled: 1-line block ×3, first 2 shown]
	v_fma_f64 v[23:24], v[54:55], v[74:75], -v[56:57]
	v_mul_f64 v[54:55], v[34:35], v[6:7]
	v_fma_f64 v[27:28], v[28:29], v[32:33], -v[4:5]
	v_mul_f64 v[56:57], v[64:65], v[6:7]
	v_fma_f64 v[30:31], v[0:1], v[48:49], v[46:47]
	v_fma_f64 v[46:47], v[50:51], s[20:21], v[52:53]
	;; [unrolled: 1-line block ×3, first 2 shown]
	v_fma_f64 v[32:33], v[0:1], v[40:41], -v[2:3]
	v_mul_f64 v[0:1], v[25:26], v[82:83]
	v_mul_f64 v[2:3], v[38:39], v[82:83]
	v_fma_f64 v[50:51], v[58:59], v[70:71], -v[60:61]
	v_mul_f64 v[4:5], v[44:45], v[62:63]
	v_mul_f64 v[40:41], v[84:85], v[66:67]
	;; [unrolled: 1-line block ×6, first 2 shown]
	v_fma_f64 v[0:1], v[38:39], v[23:24], v[0:1]
	v_fma_f64 v[2:3], v[25:26], v[23:24], -v[2:3]
	v_fma_f64 v[23:24], v[64:65], v[27:28], v[54:55]
	v_fma_f64 v[4:5], v[46:47], v[50:51], v[4:5]
	v_fma_f64 v[25:26], v[34:35], v[27:28], -v[56:57]
	v_fma_f64 v[27:28], v[48:49], v[32:33], v[58:59]
	v_fma_f64 v[6:7], v[44:45], v[50:51], -v[19:20]
	;; [unrolled: 2-line block ×3, first 2 shown]
	v_fma_f64 v[29:30], v[42:43], v[32:33], -v[29:30]
	ds_write_b128 v18, v[0:3]
	ds_write_b128 v18, v[4:7] offset:400
	ds_write_b128 v18, v[19:22] offset:800
	;; [unrolled: 1-line block ×4, first 2 shown]
	s_waitcnt lgkmcnt(0)
	s_barrier
	buffer_gl0_inv
	s_and_saveexec_b32 s4, s5
	s_cbranch_execz .LBB0_17
; %bb.16:
	v_mad_u64_u32 v[0:1], null, s2, v15, 0
	v_mad_u64_u32 v[2:3], null, s0, v14, 0
	s_mul_i32 s4, s7, s8
	s_mul_hi_u32 s5, s6, s8
	s_mul_i32 s2, s6, s8
	v_add3_u32 v18, 0, v16, v17
	v_mad_u64_u32 v[20:21], null, s0, v11, 0
	v_mad_u64_u32 v[4:5], null, s3, v15, v[1:2]
	s_add_i32 s3, s5, s4
	v_mad_u64_u32 v[15:16], null, s0, v13, 0
	v_lshlrev_b64 v[5:6], 4, v[8:9]
	s_lshl_b64 s[2:3], s[2:3], 4
	v_mad_u64_u32 v[8:9], null, s0, v12, 0
	v_mov_b32_e32 v1, v4
	s_add_u32 s2, s18, s2
	v_mad_u64_u32 v[3:4], null, s1, v14, v[3:4]
	s_addc_u32 s3, s19, s3
	v_lshlrev_b64 v[0:1], 4, v[0:1]
	v_add_co_u32 v5, vcc_lo, s2, v5
	v_mov_b32_e32 v4, v16
	v_add_co_ci_u32_e32 v6, vcc_lo, s3, v6, vcc_lo
	v_add_co_u32 v30, vcc_lo, v5, v0
	v_mad_u64_u32 v[24:25], null, s0, v10, 0
	v_add_co_ci_u32_e32 v31, vcc_lo, v6, v1, vcc_lo
	v_lshlrev_b64 v[0:1], 4, v[2:3]
	v_mad_u64_u32 v[2:3], null, s1, v13, v[4:5]
	v_add_co_u32 v22, vcc_lo, v30, v0
	v_mov_b32_e32 v0, v9
	v_mov_b32_e32 v16, v2
	;; [unrolled: 1-line block ×3, first 2 shown]
	v_add_co_ci_u32_e32 v23, vcc_lo, v31, v1, vcc_lo
	v_mad_u64_u32 v[12:13], null, s1, v12, v[0:1]
	v_lshlrev_b64 v[13:14], 4, v[15:16]
	v_mad_u64_u32 v[16:17], null, s1, v11, v[9:10]
	v_mov_b32_e32 v15, v25
	ds_read_b128 v[0:3], v18
	ds_read_b128 v[4:7], v18 offset:400
	v_mov_b32_e32 v9, v12
	v_mad_u64_u32 v[25:26], null, s1, v10, v[15:16]
	v_add_co_u32 v26, vcc_lo, v30, v13
	v_add_co_ci_u32_e32 v27, vcc_lo, v31, v14, vcc_lo
	v_mov_b32_e32 v21, v16
	v_lshlrev_b64 v[28:29], 4, v[8:9]
	ds_read_b128 v[8:11], v18 offset:800
	ds_read_b128 v[12:15], v18 offset:1200
	ds_read_b128 v[16:19], v18 offset:1600
	v_lshlrev_b64 v[24:25], 4, v[24:25]
	v_lshlrev_b64 v[20:21], 4, v[20:21]
	v_add_co_u32 v28, vcc_lo, v30, v28
	v_add_co_ci_u32_e32 v29, vcc_lo, v31, v29, vcc_lo
	v_add_co_u32 v20, vcc_lo, v30, v20
	v_add_co_ci_u32_e32 v21, vcc_lo, v31, v21, vcc_lo
	;; [unrolled: 2-line block ×3, first 2 shown]
	s_waitcnt lgkmcnt(4)
	global_store_dwordx4 v[22:23], v[0:3], off
	s_waitcnt lgkmcnt(3)
	global_store_dwordx4 v[26:27], v[4:7], off
	;; [unrolled: 2-line block ×5, first 2 shown]
.LBB0_17:
	s_endpgm
	.section	.rodata,"a",@progbits
	.p2align	6, 0x0
	.amdhsa_kernel fft_rtc_back_len125_factors_5_5_5_wgs_400_tpt_25_dp_op_CI_CI_sbcc_twdbase6_3step
		.amdhsa_group_segment_fixed_size 0
		.amdhsa_private_segment_fixed_size 0
		.amdhsa_kernarg_size 112
		.amdhsa_user_sgpr_count 6
		.amdhsa_user_sgpr_private_segment_buffer 1
		.amdhsa_user_sgpr_dispatch_ptr 0
		.amdhsa_user_sgpr_queue_ptr 0
		.amdhsa_user_sgpr_kernarg_segment_ptr 1
		.amdhsa_user_sgpr_dispatch_id 0
		.amdhsa_user_sgpr_flat_scratch_init 0
		.amdhsa_user_sgpr_private_segment_size 0
		.amdhsa_wavefront_size32 1
		.amdhsa_uses_dynamic_stack 0
		.amdhsa_system_sgpr_private_segment_wavefront_offset 0
		.amdhsa_system_sgpr_workgroup_id_x 1
		.amdhsa_system_sgpr_workgroup_id_y 0
		.amdhsa_system_sgpr_workgroup_id_z 0
		.amdhsa_system_sgpr_workgroup_info 0
		.amdhsa_system_vgpr_workitem_id 0
		.amdhsa_next_free_vgpr 91
		.amdhsa_next_free_sgpr 53
		.amdhsa_reserve_vcc 1
		.amdhsa_reserve_flat_scratch 0
		.amdhsa_float_round_mode_32 0
		.amdhsa_float_round_mode_16_64 0
		.amdhsa_float_denorm_mode_32 3
		.amdhsa_float_denorm_mode_16_64 3
		.amdhsa_dx10_clamp 1
		.amdhsa_ieee_mode 1
		.amdhsa_fp16_overflow 0
		.amdhsa_workgroup_processor_mode 1
		.amdhsa_memory_ordered 1
		.amdhsa_forward_progress 0
		.amdhsa_shared_vgpr_count 0
		.amdhsa_exception_fp_ieee_invalid_op 0
		.amdhsa_exception_fp_denorm_src 0
		.amdhsa_exception_fp_ieee_div_zero 0
		.amdhsa_exception_fp_ieee_overflow 0
		.amdhsa_exception_fp_ieee_underflow 0
		.amdhsa_exception_fp_ieee_inexact 0
		.amdhsa_exception_int_div_zero 0
	.end_amdhsa_kernel
	.text
.Lfunc_end0:
	.size	fft_rtc_back_len125_factors_5_5_5_wgs_400_tpt_25_dp_op_CI_CI_sbcc_twdbase6_3step, .Lfunc_end0-fft_rtc_back_len125_factors_5_5_5_wgs_400_tpt_25_dp_op_CI_CI_sbcc_twdbase6_3step
                                        ; -- End function
	.section	.AMDGPU.csdata,"",@progbits
; Kernel info:
; codeLenInByte = 5488
; NumSgprs: 55
; NumVgprs: 91
; ScratchSize: 0
; MemoryBound: 0
; FloatMode: 240
; IeeeMode: 1
; LDSByteSize: 0 bytes/workgroup (compile time only)
; SGPRBlocks: 6
; VGPRBlocks: 11
; NumSGPRsForWavesPerEU: 55
; NumVGPRsForWavesPerEU: 91
; Occupancy: 10
; WaveLimiterHint : 1
; COMPUTE_PGM_RSRC2:SCRATCH_EN: 0
; COMPUTE_PGM_RSRC2:USER_SGPR: 6
; COMPUTE_PGM_RSRC2:TRAP_HANDLER: 0
; COMPUTE_PGM_RSRC2:TGID_X_EN: 1
; COMPUTE_PGM_RSRC2:TGID_Y_EN: 0
; COMPUTE_PGM_RSRC2:TGID_Z_EN: 0
; COMPUTE_PGM_RSRC2:TIDIG_COMP_CNT: 0
	.text
	.p2alignl 6, 3214868480
	.fill 48, 4, 3214868480
	.type	__hip_cuid_c36e87d5c9256bd7,@object ; @__hip_cuid_c36e87d5c9256bd7
	.section	.bss,"aw",@nobits
	.globl	__hip_cuid_c36e87d5c9256bd7
__hip_cuid_c36e87d5c9256bd7:
	.byte	0                               ; 0x0
	.size	__hip_cuid_c36e87d5c9256bd7, 1

	.ident	"AMD clang version 19.0.0git (https://github.com/RadeonOpenCompute/llvm-project roc-6.4.0 25133 c7fe45cf4b819c5991fe208aaa96edf142730f1d)"
	.section	".note.GNU-stack","",@progbits
	.addrsig
	.addrsig_sym __hip_cuid_c36e87d5c9256bd7
	.amdgpu_metadata
---
amdhsa.kernels:
  - .args:
      - .actual_access:  read_only
        .address_space:  global
        .offset:         0
        .size:           8
        .value_kind:     global_buffer
      - .address_space:  global
        .offset:         8
        .size:           8
        .value_kind:     global_buffer
      - .offset:         16
        .size:           8
        .value_kind:     by_value
      - .actual_access:  read_only
        .address_space:  global
        .offset:         24
        .size:           8
        .value_kind:     global_buffer
      - .actual_access:  read_only
        .address_space:  global
        .offset:         32
        .size:           8
        .value_kind:     global_buffer
      - .actual_access:  read_only
        .address_space:  global
        .offset:         40
        .size:           8
        .value_kind:     global_buffer
      - .offset:         48
        .size:           8
        .value_kind:     by_value
      - .actual_access:  read_only
        .address_space:  global
        .offset:         56
        .size:           8
        .value_kind:     global_buffer
      - .actual_access:  read_only
        .address_space:  global
        .offset:         64
        .size:           8
        .value_kind:     global_buffer
      - .offset:         72
        .size:           4
        .value_kind:     by_value
      - .actual_access:  read_only
        .address_space:  global
        .offset:         80
        .size:           8
        .value_kind:     global_buffer
      - .actual_access:  read_only
        .address_space:  global
        .offset:         88
        .size:           8
        .value_kind:     global_buffer
      - .actual_access:  read_only
        .address_space:  global
        .offset:         96
        .size:           8
        .value_kind:     global_buffer
      - .actual_access:  write_only
        .address_space:  global
        .offset:         104
        .size:           8
        .value_kind:     global_buffer
    .group_segment_fixed_size: 0
    .kernarg_segment_align: 8
    .kernarg_segment_size: 112
    .language:       OpenCL C
    .language_version:
      - 2
      - 0
    .max_flat_workgroup_size: 400
    .name:           fft_rtc_back_len125_factors_5_5_5_wgs_400_tpt_25_dp_op_CI_CI_sbcc_twdbase6_3step
    .private_segment_fixed_size: 0
    .sgpr_count:     55
    .sgpr_spill_count: 0
    .symbol:         fft_rtc_back_len125_factors_5_5_5_wgs_400_tpt_25_dp_op_CI_CI_sbcc_twdbase6_3step.kd
    .uniform_work_group_size: 1
    .uses_dynamic_stack: false
    .vgpr_count:     91
    .vgpr_spill_count: 0
    .wavefront_size: 32
    .workgroup_processor_mode: 1
amdhsa.target:   amdgcn-amd-amdhsa--gfx1030
amdhsa.version:
  - 1
  - 2
...

	.end_amdgpu_metadata
